;; amdgpu-corpus repo=LLNL/RAJAPerf kind=compiled arch=gfx1100 opt=O3
	.text
	.amdgcn_target "amdgcn-amd-amdhsa--gfx1100"
	.amdhsa_code_object_version 6
	.section	.text._ZN8rajaperf4apps13Diffusion3DPAILm64EEEvPdS2_S2_S2_S2_b,"axG",@progbits,_ZN8rajaperf4apps13Diffusion3DPAILm64EEEvPdS2_S2_S2_S2_b,comdat
	.protected	_ZN8rajaperf4apps13Diffusion3DPAILm64EEEvPdS2_S2_S2_S2_b ; -- Begin function _ZN8rajaperf4apps13Diffusion3DPAILm64EEEvPdS2_S2_S2_S2_b
	.globl	_ZN8rajaperf4apps13Diffusion3DPAILm64EEEvPdS2_S2_S2_S2_b
	.p2align	8
	.type	_ZN8rajaperf4apps13Diffusion3DPAILm64EEEvPdS2_S2_S2_S2_b,@function
_ZN8rajaperf4apps13Diffusion3DPAILm64EEEvPdS2_S2_S2_S2_b: ; @_ZN8rajaperf4apps13Diffusion3DPAILm64EEEvPdS2_S2_S2_S2_b
; %bb.0:
	s_load_b256 s[16:23], s[0:1], 0x8
	v_bfe_u32 v43, v0, 20, 10
	v_bfe_u32 v44, v0, 10, 10
	s_delay_alu instid0(VALU_DEP_2) | instskip(NEXT) | instid1(VALU_DEP_1)
	v_cmp_gt_u32_e64 s2, 3, v43
	s_and_saveexec_b32 s3, s2
	s_cbranch_execz .LBB0_4
; %bb.1:
	s_delay_alu instid0(VALU_DEP_2)
	v_cmp_gt_u32_e32 vcc_lo, 3, v44
	s_and_b32 exec_lo, exec_lo, vcc_lo
	s_cbranch_execz .LBB0_4
; %bb.2:
	v_and_b32_e32 v1, 0x3ff, v0
	s_delay_alu instid0(VALU_DEP_1)
	v_cmp_gt_u32_e32 vcc_lo, 3, v1
	s_and_b32 exec_lo, exec_lo, vcc_lo
	s_cbranch_execz .LBB0_4
; %bb.3:
	v_mul_u32_u24_e32 v5, 24, v44
	v_lshlrev_b32_e32 v6, 3, v1
	s_waitcnt lgkmcnt(0)
	s_delay_alu instid0(VALU_DEP_2) | instskip(NEXT) | instid1(VALU_DEP_1)
	v_add_co_u32 v1, s4, s20, v5
	v_add_co_ci_u32_e64 v2, null, s21, 0, s4
	s_delay_alu instid0(VALU_DEP_2) | instskip(NEXT) | instid1(VALU_DEP_2)
	v_add_co_u32 v1, vcc_lo, v1, v6
	v_add_co_ci_u32_e32 v2, vcc_lo, 0, v2, vcc_lo
	s_delay_alu instid0(VALU_DEP_1) | instskip(NEXT) | instid1(VALU_DEP_1)
	v_mad_u64_u32 v[3:4], null, 0x48, v43, v[1:2]
	v_mad_u64_u32 v[1:2], null, 0xd8, s15, v[3:4]
	v_mul_u32_u24_e32 v3, 0x48, v43
	s_delay_alu instid0(VALU_DEP_1)
	v_add3_u32 v3, v3, v5, v6
	global_load_b64 v[1:2], v[1:2], off
	s_waitcnt vmcnt(0)
	ds_store_b64 v3, v[1:2] offset:1024
.LBB0_4:
	s_or_b32 exec_lo, exec_lo, s3
	v_cmp_eq_u32_e64 s4, 0, v43
	s_delay_alu instid0(VALU_DEP_1)
	s_and_saveexec_b32 s3, s4
	s_cbranch_execz .LBB0_8
; %bb.5:
	v_cmp_gt_u32_e32 vcc_lo, 3, v44
	s_and_b32 exec_lo, exec_lo, vcc_lo
	s_cbranch_execz .LBB0_8
; %bb.6:
	v_and_b32_e32 v1, 0x3ff, v0
	s_delay_alu instid0(VALU_DEP_1)
	v_cmp_gt_u32_e32 vcc_lo, 4, v1
	s_and_b32 exec_lo, exec_lo, vcc_lo
	s_cbranch_execz .LBB0_8
; %bb.7:
	v_lshlrev_b32_e32 v2, 3, v1
	v_lshlrev_b32_e32 v4, 3, v44
	s_delay_alu instid0(VALU_DEP_2) | instskip(NEXT) | instid1(VALU_DEP_2)
	v_lshl_or_b32 v2, v44, 5, v2
	v_mad_u32_u24 v1, v1, 24, v4
	s_waitcnt lgkmcnt(0)
	global_load_b64 v[2:3], v2, s[16:17]
	s_waitcnt vmcnt(0)
	ds_store_b64 v1, v[2:3] offset:3072
.LBB0_8:
	s_or_b32 exec_lo, exec_lo, s3
	s_waitcnt lgkmcnt(0)
	s_barrier
	buffer_gl0_inv
	s_and_saveexec_b32 s3, s2
	s_cbranch_execz .LBB0_12
; %bb.9:
	v_cmp_gt_u32_e32 vcc_lo, 3, v44
	s_and_b32 exec_lo, exec_lo, vcc_lo
	s_cbranch_execz .LBB0_12
; %bb.10:
	v_and_b32_e32 v1, 0x3ff, v0
	s_delay_alu instid0(VALU_DEP_1)
	v_cmp_gt_u32_e32 vcc_lo, 4, v1
	s_and_b32 exec_lo, exec_lo, vcc_lo
	s_cbranch_execz .LBB0_12
; %bb.11:
	v_mul_u32_u24_e32 v2, 24, v44
	v_mad_u32_u24 v3, v1, 24, 0xc00
	v_mul_u32_u24_e32 v12, 24, v1
	v_lshlrev_b32_e32 v1, 3, v1
	s_delay_alu instid0(VALU_DEP_4)
	v_mad_u32_u24 v10, 0x48, v43, v2
	ds_load_2addr_b64 v[2:5], v3 offset1:1
	ds_load_2addr_b64 v[6:9], v10 offset0:128 offset1:129
	ds_load_b64 v[10:11], v10 offset:1040
	ds_load_b64 v[12:13], v12 offset:3088
	s_waitcnt lgkmcnt(2)
	v_fma_f64 v[2:3], v[6:7], v[2:3], 0
	s_delay_alu instid0(VALU_DEP_1) | instskip(SKIP_2) | instid1(VALU_DEP_1)
	v_fma_f64 v[2:3], v[8:9], v[4:5], v[2:3]
	v_lshlrev_b32_e32 v4, 5, v44
	v_mul_u32_u24_e32 v5, 0x60, v43
	v_add3_u32 v1, v5, v4, v1
	s_waitcnt lgkmcnt(0)
	s_delay_alu instid0(VALU_DEP_4)
	v_fma_f64 v[2:3], v[10:11], v[12:13], v[2:3]
	ds_store_2addr_stride64_b64 v1, v[2:3], v[2:3] offset1:1
.LBB0_12:
	s_or_b32 exec_lo, exec_lo, s3
	s_waitcnt lgkmcnt(0)
	s_barrier
	buffer_gl0_inv
	s_and_saveexec_b32 s3, s2
	s_cbranch_execz .LBB0_16
; %bb.13:
	v_cmp_gt_u32_e32 vcc_lo, 4, v44
	s_and_b32 exec_lo, exec_lo, vcc_lo
	s_cbranch_execz .LBB0_16
; %bb.14:
	v_and_b32_e32 v1, 0x3ff, v0
	s_delay_alu instid0(VALU_DEP_1)
	v_cmp_gt_u32_e32 vcc_lo, 4, v1
	s_and_b32 exec_lo, exec_lo, vcc_lo
	s_cbranch_execz .LBB0_16
; %bb.15:
	v_lshlrev_b32_e32 v17, 3, v1
	v_mad_u32_u24 v5, v44, 24, 0xc00
	v_mul_u32_u24_e32 v13, 24, v44
	s_delay_alu instid0(VALU_DEP_3)
	v_mad_u32_u24 v18, 0x60, v43, v17
	ds_load_2addr_b64 v[1:4], v18 offset0:8 offset1:64
	ds_load_2addr_b64 v[5:8], v5 offset1:1
	ds_load_2addr_b64 v[9:12], v18 offset1:4
	ds_load_b64 v[13:14], v13 offset:3088
	s_waitcnt lgkmcnt(2)
	v_fma_f64 v[15:16], v[3:4], v[5:6], 0
	s_waitcnt lgkmcnt(1)
	v_fma_f64 v[9:10], v[5:6], v[9:10], 0
	ds_load_2addr_b64 v[3:6], v18 offset0:68 offset1:72
	s_waitcnt lgkmcnt(0)
	v_fma_f64 v[3:4], v[3:4], v[7:8], v[15:16]
	v_fma_f64 v[7:8], v[7:8], v[11:12], v[9:10]
	s_delay_alu instid0(VALU_DEP_2) | instskip(NEXT) | instid1(VALU_DEP_2)
	v_fma_f64 v[3:4], v[5:6], v[13:14], v[3:4]
	v_fma_f64 v[1:2], v[13:14], v[1:2], v[7:8]
	v_lshlrev_b32_e32 v5, 5, v44
	v_lshlrev_b32_e32 v6, 7, v43
	s_delay_alu instid0(VALU_DEP_1)
	v_add3_u32 v5, v6, v5, v17
	ds_store_2addr_stride64_b64 v5, v[3:4], v[1:2] offset0:3 offset1:4
	ds_store_b64 v5, v[1:2] offset:2560
.LBB0_16:
	s_or_b32 exec_lo, exec_lo, s3
	v_cmp_gt_u32_e64 s3, 4, v43
	s_waitcnt lgkmcnt(0)
	s_barrier
	buffer_gl0_inv
	s_and_saveexec_b32 s5, s3
	s_cbranch_execz .LBB0_26
; %bb.17:
	v_cmp_gt_u32_e32 vcc_lo, 4, v44
	s_and_b32 exec_lo, exec_lo, vcc_lo
	s_cbranch_execz .LBB0_26
; %bb.18:
	v_and_b32_e32 v1, 0x3ff, v0
	s_delay_alu instid0(VALU_DEP_1)
	v_cmp_gt_u32_e32 vcc_lo, 4, v1
	s_and_b32 exec_lo, exec_lo, vcc_lo
	s_cbranch_execz .LBB0_26
; %bb.19:
	v_lshlrev_b32_e32 v3, 4, v43
	s_mul_hi_u32 s7, s15, 0x180
	v_lshlrev_b32_e32 v2, 2, v44
	s_mul_i32 s6, s15, 0x180
	s_load_b32 s0, s[0:1], 0x28
	v_mul_u32_u24_e32 v17, 24, v43
	v_mad_u32_u24 v18, v43, 24, 0xc00
	v_or3_b32 v45, v3, v2, v1
	v_mov_b32_e32 v3, s7
	s_delay_alu instid0(VALU_DEP_2) | instskip(SKIP_1) | instid1(VALU_DEP_2)
	v_or_b32_e32 v2, s6, v45
	v_lshlrev_b32_e32 v31, 3, v45
	v_lshlrev_b64 v[2:3], 3, v[2:3]
	s_delay_alu instid0(VALU_DEP_1)
	v_or_b32_e32 v4, 0x200, v2
	s_waitcnt lgkmcnt(0)
	s_bitcmp1_b32 s0, 0
	s_cselect_b32 s0, -1, 0
	s_lshl_b64 s[6:7], s[6:7], 3
	v_add_co_u32 v4, vcc_lo, s18, v4
	v_add_co_ci_u32_e32 v5, vcc_lo, s19, v3, vcc_lo
	v_add_co_u32 v2, vcc_lo, s18, v2
	v_add_co_ci_u32_e32 v3, vcc_lo, s19, v3, vcc_lo
	global_load_b64 v[25:26], v[4:5], off
	s_xor_b32 s1, s0, -1
	s_add_u32 s8, s6, s18
	s_addc_u32 s9, s7, s19
	s_clause 0x1
	global_load_b64 v[21:22], v[2:3], off
	global_load_b64 v[23:24], v31, s[8:9] offset:1024
	v_lshlrev_b32_e32 v46, 3, v1
	v_add_co_u32 v39, s8, s8, v31
	s_delay_alu instid0(VALU_DEP_1) | instskip(SKIP_4) | instid1(VALU_DEP_1)
	v_add_co_ci_u32_e64 v40, null, s9, 0, s8
	s_and_b32 vcc_lo, exec_lo, s0
	s_waitcnt vmcnt(2)
	v_dual_mov_b32 v32, v26 :: v_dual_mov_b32 v31, v25
	v_lshl_add_u32 v29, v44, 5, v46
	v_add_nc_u32_e32 v5, 0x400, v29
	v_add_nc_u32_e32 v13, 0x800, v29
	ds_load_2addr_b64 v[1:4], v29 offset0:192 offset1:208
	ds_load_2addr_b64 v[5:8], v5 offset0:96 offset1:128
	;; [unrolled: 1-line block ×4, first 2 shown]
	ds_load_b64 v[27:28], v17 offset:3088
	ds_load_2addr_b64 v[17:20], v18 offset1:1
	ds_load_b64 v[29:30], v29 offset:2816
	s_cbranch_vccnz .LBB0_21
; %bb.20:
	global_load_b64 v[31:32], v[39:40], off offset:1536
.LBB0_21:
	v_or_b32_e32 v33, 0xc0, v45
	v_or_b32_e32 v34, 0x100, v45
	v_or_b32_e32 v47, 0x140, v45
	s_add_u32 s8, s6, s18
	s_addc_u32 s9, s7, s19
	v_cndmask_b32_e64 v41, 0, 1, s1
	v_cndmask_b32_e64 v33, v34, v33, s0
	;; [unrolled: 1-line block ×3, first 2 shown]
	s_and_not1_b32 vcc_lo, exec_lo, s1
	s_waitcnt vmcnt(0)
	v_dual_mov_b32 v36, v24 :: v_dual_mov_b32 v35, v23
	v_lshlrev_b32_e32 v33, 3, v33
	v_lshlrev_b32_e32 v34, 3, v34
	s_clause 0x1
	global_load_b64 v[37:38], v33, s[8:9]
	global_load_b64 v[33:34], v34, s[8:9]
	s_cbranch_vccnz .LBB0_23
; %bb.22:
	global_load_b64 v[35:36], v[39:40], off offset:3072
.LBB0_23:
	v_cmp_ne_u32_e32 vcc_lo, 1, v41
	s_waitcnt vmcnt(0)
	v_dual_mov_b32 v42, v34 :: v_dual_mov_b32 v41, v33
	s_cbranch_vccnz .LBB0_25
; %bb.24:
	global_load_b64 v[41:42], v[39:40], off offset:3584
.LBB0_25:
	v_or_b32_e32 v39, 0x200, v45
	s_waitcnt lgkmcnt(1)
	v_fma_f64 v[7:8], v[17:18], v[7:8], 0
	v_fma_f64 v[1:2], v[1:2], v[17:18], 0
	;; [unrolled: 1-line block ×3, first 2 shown]
	v_cndmask_b32_e64 v39, v39, v47, s0
	s_add_u32 s0, s6, s18
	s_addc_u32 s1, s7, s19
	s_delay_alu instid0(VALU_DEP_1) | instskip(SKIP_3) | instid1(VALU_DEP_2)
	v_lshlrev_b32_e32 v39, 3, v39
	global_load_b64 v[39:40], v39, s[0:1]
	v_fma_f64 v[7:8], v[19:20], v[13:14], v[7:8]
	v_fma_f64 v[1:2], v[3:4], v[19:20], v[1:2]
	;; [unrolled: 1-line block ×4, first 2 shown]
	s_delay_alu instid0(VALU_DEP_3) | instskip(NEXT) | instid1(VALU_DEP_3)
	v_fma_f64 v[1:2], v[5:6], v[27:28], v[1:2]
	v_mul_f64 v[5:6], v[3:4], v[25:26]
	v_mul_f64 v[9:10], v[3:4], v[37:38]
	s_waitcnt vmcnt(1)
	v_mul_f64 v[3:4], v[3:4], v[41:42]
	s_waitcnt lgkmcnt(0)
	v_fma_f64 v[7:8], v[27:28], v[29:30], v[7:8]
	s_delay_alu instid0(VALU_DEP_4) | instskip(NEXT) | instid1(VALU_DEP_4)
	v_fma_f64 v[5:6], v[1:2], v[21:22], v[5:6]
	v_fma_f64 v[9:10], v[1:2], v[31:32], v[9:10]
	s_delay_alu instid0(VALU_DEP_4) | instskip(NEXT) | instid1(VALU_DEP_3)
	v_fma_f64 v[1:2], v[1:2], v[35:36], v[3:4]
	v_fma_f64 v[3:4], v[7:8], v[23:24], v[5:6]
	s_delay_alu instid0(VALU_DEP_3) | instskip(SKIP_1) | instid1(VALU_DEP_3)
	v_fma_f64 v[5:6], v[7:8], v[33:34], v[9:10]
	s_waitcnt vmcnt(0)
	v_fma_f64 v[1:2], v[7:8], v[39:40], v[1:2]
	v_lshlrev_b32_e32 v7, 5, v44
	v_lshlrev_b32_e32 v8, 7, v43
	s_delay_alu instid0(VALU_DEP_1)
	v_add3_u32 v7, v8, v7, v46
	ds_store_2addr_stride64_b64 v7, v[3:4], v[5:6] offset1:1
	ds_store_b64 v7, v[1:2] offset:1024
.LBB0_26:
	s_or_b32 exec_lo, exec_lo, s5
	s_waitcnt lgkmcnt(0)
	s_barrier
	buffer_gl0_inv
	s_and_saveexec_b32 s0, s4
	s_cbranch_execz .LBB0_30
; %bb.27:
	v_cmp_gt_u32_e32 vcc_lo, 3, v44
	s_and_b32 exec_lo, exec_lo, vcc_lo
	s_cbranch_execz .LBB0_30
; %bb.28:
	v_and_b32_e32 v1, 0x3ff, v0
	s_delay_alu instid0(VALU_DEP_1)
	v_cmp_gt_u32_e32 vcc_lo, 4, v1
	s_and_b32 exec_lo, exec_lo, vcc_lo
	s_cbranch_execz .LBB0_30
; %bb.29:
	v_lshlrev_b32_e32 v3, 3, v1
	v_lshlrev_b32_e32 v4, 5, v44
	s_delay_alu instid0(VALU_DEP_1)
	v_or_b32_e32 v1, v4, v3
	v_add_nc_u32_e32 v3, v4, v3
	global_load_b64 v[1:2], v1, s[16:17]
	s_waitcnt vmcnt(0)
	ds_store_b64 v3, v[1:2] offset:3072
.LBB0_30:
	s_or_b32 exec_lo, exec_lo, s0
	s_waitcnt lgkmcnt(0)
	s_barrier
	buffer_gl0_inv
	s_and_saveexec_b32 s0, s3
	s_cbranch_execz .LBB0_34
; %bb.31:
	v_cmp_gt_u32_e32 vcc_lo, 4, v44
	s_and_b32 exec_lo, exec_lo, vcc_lo
	s_cbranch_execz .LBB0_34
; %bb.32:
	v_and_b32_e32 v1, 0x3ff, v0
	s_delay_alu instid0(VALU_DEP_1)
	v_cmp_gt_u32_e32 vcc_lo, 3, v1
	s_and_b32 exec_lo, exec_lo, vcc_lo
	s_cbranch_execz .LBB0_34
; %bb.33:
	v_lshlrev_b32_e32 v2, 5, v44
	v_lshlrev_b32_e32 v18, 5, v1
	;; [unrolled: 1-line block ×3, first 2 shown]
	s_delay_alu instid0(VALU_DEP_3)
	v_lshl_add_u32 v30, v43, 7, v2
	ds_load_b128 v[2:5], v30
	ds_load_b128 v[6:9], v18 offset:3072
	ds_load_b128 v[10:13], v30 offset:512
	;; [unrolled: 1-line block ×7, first 2 shown]
	s_waitcnt lgkmcnt(6)
	v_fma_f64 v[2:3], v[2:3], v[6:7], 0
	s_waitcnt lgkmcnt(5)
	v_fma_f64 v[10:11], v[6:7], v[10:11], 0
	;; [unrolled: 2-line block ×3, first 2 shown]
	s_delay_alu instid0(VALU_DEP_3) | instskip(NEXT) | instid1(VALU_DEP_3)
	v_fma_f64 v[2:3], v[4:5], v[8:9], v[2:3]
	v_fma_f64 v[4:5], v[8:9], v[12:13], v[10:11]
	s_delay_alu instid0(VALU_DEP_3) | instskip(SKIP_2) | instid1(VALU_DEP_1)
	v_fma_f64 v[6:7], v[8:9], v[16:17], v[6:7]
	v_mul_u32_u24_e32 v8, 24, v44
	v_mul_u32_u24_e32 v9, 0x60, v43
	v_add3_u32 v1, v9, v8, v1
	s_waitcnt lgkmcnt(2)
	v_fma_f64 v[2:3], v[22:23], v[18:19], v[2:3]
	s_waitcnt lgkmcnt(1)
	v_fma_f64 v[4:5], v[18:19], v[26:27], v[4:5]
	;; [unrolled: 2-line block ×3, first 2 shown]
	s_delay_alu instid0(VALU_DEP_3) | instskip(NEXT) | instid1(VALU_DEP_3)
	v_fma_f64 v[2:3], v[24:25], v[20:21], v[2:3]
	v_fma_f64 v[4:5], v[20:21], v[28:29], v[4:5]
	s_delay_alu instid0(VALU_DEP_3)
	v_fma_f64 v[6:7], v[20:21], v[32:33], v[6:7]
	ds_store_2addr_stride64_b64 v1, v[2:3], v[4:5] offset0:3 offset1:4
	ds_store_b64 v1, v[6:7] offset:2560
.LBB0_34:
	s_or_b32 exec_lo, exec_lo, s0
	s_waitcnt lgkmcnt(0)
	s_barrier
	buffer_gl0_inv
	s_and_saveexec_b32 s0, s3
	s_cbranch_execz .LBB0_38
; %bb.35:
	v_cmp_gt_u32_e32 vcc_lo, 3, v44
	s_and_b32 exec_lo, exec_lo, vcc_lo
	s_cbranch_execz .LBB0_38
; %bb.36:
	v_and_b32_e32 v1, 0x3ff, v0
	s_delay_alu instid0(VALU_DEP_1)
	v_cmp_gt_u32_e32 vcc_lo, 3, v1
	s_and_b32 exec_lo, exec_lo, vcc_lo
	s_cbranch_execz .LBB0_38
; %bb.37:
	v_lshlrev_b32_e32 v23, 3, v1
	v_lshlrev_b32_e32 v17, 5, v44
	s_delay_alu instid0(VALU_DEP_2) | instskip(NEXT) | instid1(VALU_DEP_1)
	v_mad_u32_u24 v24, 0x60, v43, v23
	v_add_nc_u32_e32 v25, 0x800, v24
	ds_load_2addr_b64 v[1:4], v24 offset0:192 offset1:195
	ds_load_b128 v[5:8], v17 offset:3072
	ds_load_2addr_b64 v[9:12], v25 offset1:3
	ds_load_2addr_b64 v[13:16], v25 offset0:64 offset1:67
	ds_load_b128 v[17:20], v17 offset:3088
	s_waitcnt lgkmcnt(3)
	v_fma_f64 v[1:2], v[1:2], v[5:6], 0
	s_waitcnt lgkmcnt(2)
	v_fma_f64 v[9:10], v[5:6], v[9:10], 0
	;; [unrolled: 2-line block ×3, first 2 shown]
	s_delay_alu instid0(VALU_DEP_3) | instskip(NEXT) | instid1(VALU_DEP_3)
	v_fma_f64 v[13:14], v[3:4], v[7:8], v[1:2]
	v_fma_f64 v[21:22], v[7:8], v[11:12], v[9:10]
	s_delay_alu instid0(VALU_DEP_3)
	v_fma_f64 v[15:16], v[7:8], v[15:16], v[5:6]
	ds_load_2addr_b64 v[1:4], v24 offset0:198 offset1:201
	ds_load_2addr_b64 v[5:8], v25 offset0:6 offset1:9
	;; [unrolled: 1-line block ×3, first 2 shown]
	s_waitcnt lgkmcnt(2)
	v_fma_f64 v[1:2], v[1:2], v[17:18], v[13:14]
	s_waitcnt lgkmcnt(1)
	v_fma_f64 v[5:6], v[17:18], v[5:6], v[21:22]
	;; [unrolled: 2-line block ×3, first 2 shown]
	s_delay_alu instid0(VALU_DEP_3) | instskip(NEXT) | instid1(VALU_DEP_3)
	v_fma_f64 v[1:2], v[3:4], v[19:20], v[1:2]
	v_fma_f64 v[3:4], v[19:20], v[7:8], v[5:6]
	s_delay_alu instid0(VALU_DEP_3) | instskip(SKIP_2) | instid1(VALU_DEP_1)
	v_fma_f64 v[5:6], v[19:20], v[11:12], v[9:10]
	v_mul_u32_u24_e32 v7, 24, v44
	v_mul_u32_u24_e32 v8, 0x48, v43
	v_add3_u32 v7, v8, v7, v23
	ds_store_2addr_stride64_b64 v7, v[1:2], v[3:4] offset1:1
	ds_store_b64 v7, v[5:6] offset:1024
.LBB0_38:
	s_or_b32 exec_lo, exec_lo, s0
	s_waitcnt lgkmcnt(0)
	s_barrier
	buffer_gl0_inv
	s_and_saveexec_b32 s0, s2
	s_cbranch_execz .LBB0_42
; %bb.39:
	v_cmp_gt_u32_e32 vcc_lo, 3, v44
	s_and_b32 exec_lo, exec_lo, vcc_lo
	s_cbranch_execz .LBB0_42
; %bb.40:
	v_and_b32_e32 v0, 0x3ff, v0
	s_delay_alu instid0(VALU_DEP_1)
	v_cmp_gt_u32_e32 vcc_lo, 3, v0
	s_and_b32 exec_lo, exec_lo, vcc_lo
	s_cbranch_execz .LBB0_42
; %bb.41:
	v_mul_u32_u24_e32 v1, 24, v44
	v_lshlrev_b32_e32 v4, 3, v0
	v_lshlrev_b32_e32 v12, 5, v43
	s_delay_alu instid0(VALU_DEP_3) | instskip(NEXT) | instid1(VALU_DEP_1)
	v_add_co_u32 v0, s0, s22, v1
	v_add_co_ci_u32_e64 v1, null, s23, 0, s0
	s_delay_alu instid0(VALU_DEP_4) | instskip(NEXT) | instid1(VALU_DEP_3)
	v_mad_u32_u24 v26, v44, 24, v4
	v_add_co_u32 v0, vcc_lo, v0, v4
	s_delay_alu instid0(VALU_DEP_3) | instskip(NEXT) | instid1(VALU_DEP_1)
	v_add_co_ci_u32_e32 v1, vcc_lo, 0, v1, vcc_lo
	v_mad_u64_u32 v[2:3], null, 0x48, v43, v[0:1]
	s_delay_alu instid0(VALU_DEP_1)
	v_mad_u64_u32 v[20:21], null, 0xd8, s15, v[2:3]
	global_load_b64 v[22:23], v[20:21], off
	ds_load_2addr_b64 v[0:3], v26 offset1:9
	ds_load_b128 v[4:7], v12 offset:3072
	ds_load_2addr_b64 v[8:11], v26 offset0:64 offset1:73
	ds_load_b128 v[12:15], v12 offset:3088
	ds_load_2addr_b64 v[16:19], v26 offset0:128 offset1:137
	s_waitcnt lgkmcnt(3)
	v_fma_f64 v[0:1], v[0:1], v[4:5], 0
	s_waitcnt lgkmcnt(2)
	v_fma_f64 v[8:9], v[4:5], v[8:9], 0
	;; [unrolled: 2-line block ×3, first 2 shown]
	s_delay_alu instid0(VALU_DEP_3) | instskip(NEXT) | instid1(VALU_DEP_3)
	v_fma_f64 v[16:17], v[2:3], v[6:7], v[0:1]
	v_fma_f64 v[24:25], v[6:7], v[10:11], v[8:9]
	ds_load_2addr_b64 v[0:3], v26 offset0:18 offset1:27
	ds_load_2addr_b64 v[8:11], v26 offset0:82 offset1:91
	v_fma_f64 v[18:19], v[6:7], v[18:19], v[4:5]
	ds_load_2addr_b64 v[4:7], v26 offset0:146 offset1:155
	s_waitcnt lgkmcnt(2)
	v_fma_f64 v[0:1], v[0:1], v[12:13], v[16:17]
	s_waitcnt lgkmcnt(1)
	v_fma_f64 v[8:9], v[12:13], v[8:9], v[24:25]
	;; [unrolled: 2-line block ×3, first 2 shown]
	s_delay_alu instid0(VALU_DEP_3) | instskip(NEXT) | instid1(VALU_DEP_3)
	v_fma_f64 v[0:1], v[2:3], v[14:15], v[0:1]
	v_fma_f64 v[2:3], v[14:15], v[10:11], v[8:9]
	s_delay_alu instid0(VALU_DEP_3) | instskip(NEXT) | instid1(VALU_DEP_2)
	v_fma_f64 v[4:5], v[14:15], v[6:7], v[4:5]
	v_add_f64 v[0:1], v[0:1], v[2:3]
	s_delay_alu instid0(VALU_DEP_1) | instskip(SKIP_1) | instid1(VALU_DEP_1)
	v_add_f64 v[0:1], v[0:1], v[4:5]
	s_waitcnt vmcnt(0)
	v_add_f64 v[0:1], v[0:1], v[22:23]
	global_store_b64 v[20:21], v[0:1], off
.LBB0_42:
	s_nop 0
	s_sendmsg sendmsg(MSG_DEALLOC_VGPRS)
	s_endpgm
	.section	.rodata,"a",@progbits
	.p2align	6, 0x0
	.amdhsa_kernel _ZN8rajaperf4apps13Diffusion3DPAILm64EEEvPdS2_S2_S2_S2_b
		.amdhsa_group_segment_fixed_size 3168
		.amdhsa_private_segment_fixed_size 0
		.amdhsa_kernarg_size 44
		.amdhsa_user_sgpr_count 15
		.amdhsa_user_sgpr_dispatch_ptr 0
		.amdhsa_user_sgpr_queue_ptr 0
		.amdhsa_user_sgpr_kernarg_segment_ptr 1
		.amdhsa_user_sgpr_dispatch_id 0
		.amdhsa_user_sgpr_private_segment_size 0
		.amdhsa_wavefront_size32 1
		.amdhsa_uses_dynamic_stack 0
		.amdhsa_enable_private_segment 0
		.amdhsa_system_sgpr_workgroup_id_x 1
		.amdhsa_system_sgpr_workgroup_id_y 0
		.amdhsa_system_sgpr_workgroup_id_z 0
		.amdhsa_system_sgpr_workgroup_info 0
		.amdhsa_system_vgpr_workitem_id 2
		.amdhsa_next_free_vgpr 48
		.amdhsa_next_free_sgpr 24
		.amdhsa_reserve_vcc 1
		.amdhsa_float_round_mode_32 0
		.amdhsa_float_round_mode_16_64 0
		.amdhsa_float_denorm_mode_32 3
		.amdhsa_float_denorm_mode_16_64 3
		.amdhsa_dx10_clamp 1
		.amdhsa_ieee_mode 1
		.amdhsa_fp16_overflow 0
		.amdhsa_workgroup_processor_mode 1
		.amdhsa_memory_ordered 1
		.amdhsa_forward_progress 0
		.amdhsa_shared_vgpr_count 0
		.amdhsa_exception_fp_ieee_invalid_op 0
		.amdhsa_exception_fp_denorm_src 0
		.amdhsa_exception_fp_ieee_div_zero 0
		.amdhsa_exception_fp_ieee_overflow 0
		.amdhsa_exception_fp_ieee_underflow 0
		.amdhsa_exception_fp_ieee_inexact 0
		.amdhsa_exception_int_div_zero 0
	.end_amdhsa_kernel
	.section	.text._ZN8rajaperf4apps13Diffusion3DPAILm64EEEvPdS2_S2_S2_S2_b,"axG",@progbits,_ZN8rajaperf4apps13Diffusion3DPAILm64EEEvPdS2_S2_S2_S2_b,comdat
.Lfunc_end0:
	.size	_ZN8rajaperf4apps13Diffusion3DPAILm64EEEvPdS2_S2_S2_S2_b, .Lfunc_end0-_ZN8rajaperf4apps13Diffusion3DPAILm64EEEvPdS2_S2_S2_S2_b
                                        ; -- End function
	.section	.AMDGPU.csdata,"",@progbits
; Kernel info:
; codeLenInByte = 2692
; NumSgprs: 26
; NumVgprs: 48
; ScratchSize: 0
; MemoryBound: 0
; FloatMode: 240
; IeeeMode: 1
; LDSByteSize: 3168 bytes/workgroup (compile time only)
; SGPRBlocks: 3
; VGPRBlocks: 5
; NumSGPRsForWavesPerEU: 26
; NumVGPRsForWavesPerEU: 48
; Occupancy: 16
; WaveLimiterHint : 0
; COMPUTE_PGM_RSRC2:SCRATCH_EN: 0
; COMPUTE_PGM_RSRC2:USER_SGPR: 15
; COMPUTE_PGM_RSRC2:TRAP_HANDLER: 0
; COMPUTE_PGM_RSRC2:TGID_X_EN: 1
; COMPUTE_PGM_RSRC2:TGID_Y_EN: 0
; COMPUTE_PGM_RSRC2:TGID_Z_EN: 0
; COMPUTE_PGM_RSRC2:TIDIG_COMP_CNT: 2
	.section	.text._ZN4RAJA34launch_new_reduce_global_fcn_fixedIZN8rajaperf4apps13DIFFUSION3DPA17runHipVariantImplILm64EEEvNS1_9VariantIDEEUlNS_14LaunchContextTINS_3hip33LaunchContextIndicesAndDimsPolicyINS7_14IndicesAndDimsILb0ELb0ELb0ELb0EEEEEEEE_Li64ENS_4expt15ForallParamPackIJEEEEEvT_T1_,"axG",@progbits,_ZN4RAJA34launch_new_reduce_global_fcn_fixedIZN8rajaperf4apps13DIFFUSION3DPA17runHipVariantImplILm64EEEvNS1_9VariantIDEEUlNS_14LaunchContextTINS_3hip33LaunchContextIndicesAndDimsPolicyINS7_14IndicesAndDimsILb0ELb0ELb0ELb0EEEEEEEE_Li64ENS_4expt15ForallParamPackIJEEEEEvT_T1_,comdat
	.protected	_ZN4RAJA34launch_new_reduce_global_fcn_fixedIZN8rajaperf4apps13DIFFUSION3DPA17runHipVariantImplILm64EEEvNS1_9VariantIDEEUlNS_14LaunchContextTINS_3hip33LaunchContextIndicesAndDimsPolicyINS7_14IndicesAndDimsILb0ELb0ELb0ELb0EEEEEEEE_Li64ENS_4expt15ForallParamPackIJEEEEEvT_T1_ ; -- Begin function _ZN4RAJA34launch_new_reduce_global_fcn_fixedIZN8rajaperf4apps13DIFFUSION3DPA17runHipVariantImplILm64EEEvNS1_9VariantIDEEUlNS_14LaunchContextTINS_3hip33LaunchContextIndicesAndDimsPolicyINS7_14IndicesAndDimsILb0ELb0ELb0ELb0EEEEEEEE_Li64ENS_4expt15ForallParamPackIJEEEEEvT_T1_
	.globl	_ZN4RAJA34launch_new_reduce_global_fcn_fixedIZN8rajaperf4apps13DIFFUSION3DPA17runHipVariantImplILm64EEEvNS1_9VariantIDEEUlNS_14LaunchContextTINS_3hip33LaunchContextIndicesAndDimsPolicyINS7_14IndicesAndDimsILb0ELb0ELb0ELb0EEEEEEEE_Li64ENS_4expt15ForallParamPackIJEEEEEvT_T1_
	.p2align	8
	.type	_ZN4RAJA34launch_new_reduce_global_fcn_fixedIZN8rajaperf4apps13DIFFUSION3DPA17runHipVariantImplILm64EEEvNS1_9VariantIDEEUlNS_14LaunchContextTINS_3hip33LaunchContextIndicesAndDimsPolicyINS7_14IndicesAndDimsILb0ELb0ELb0ELb0EEEEEEEE_Li64ENS_4expt15ForallParamPackIJEEEEEvT_T1_,@function
_ZN4RAJA34launch_new_reduce_global_fcn_fixedIZN8rajaperf4apps13DIFFUSION3DPA17runHipVariantImplILm64EEEvNS1_9VariantIDEEUlNS_14LaunchContextTINS_3hip33LaunchContextIndicesAndDimsPolicyINS7_14IndicesAndDimsILb0ELb0ELb0ELb0EEEEEEEE_Li64ENS_4expt15ForallParamPackIJEEEEEvT_T1_: ; @_ZN4RAJA34launch_new_reduce_global_fcn_fixedIZN8rajaperf4apps13DIFFUSION3DPA17runHipVariantImplILm64EEEvNS1_9VariantIDEEUlNS_14LaunchContextTINS_3hip33LaunchContextIndicesAndDimsPolicyINS7_14IndicesAndDimsILb0ELb0ELb0ELb0EEEEEEEE_Li64ENS_4expt15ForallParamPackIJEEEEEvT_T1_
; %bb.0:
	s_load_b128 s[8:11], s[0:1], 0x0
	s_mov_b32 s12, s15
	s_mov_b32 s13, 0
	s_waitcnt lgkmcnt(0)
	v_cmp_le_i64_e64 s2, s[8:9], s[12:13]
	s_delay_alu instid0(VALU_DEP_1)
	s_and_b32 vcc_lo, exec_lo, s2
	s_cbranch_vccnz .LBB1_37
; %bb.1:
	s_clause 0x1
	s_load_b128 s[4:7], s[0:1], 0x18
	s_load_b64 s[8:9], s[0:1], 0x28
	v_bfe_u32 v1, v0, 20, 10
	v_bfe_u32 v2, v0, 10, 10
	s_delay_alu instid0(VALU_DEP_2)
	v_cmp_gt_u32_e32 vcc_lo, 3, v1
	s_and_saveexec_b32 s1, vcc_lo
	s_cbranch_execz .LBB1_5
; %bb.2:
	s_delay_alu instid0(VALU_DEP_2) | instskip(NEXT) | instid1(VALU_DEP_1)
	v_cmp_gt_u32_e64 s0, 3, v2
	s_and_b32 exec_lo, exec_lo, s0
	s_cbranch_execz .LBB1_5
; %bb.3:
	v_and_b32_e32 v3, 0x3ff, v0
	s_delay_alu instid0(VALU_DEP_1) | instskip(NEXT) | instid1(VALU_DEP_1)
	v_cmp_gt_u32_e64 s0, 3, v3
	s_and_b32 exec_lo, exec_lo, s0
	s_cbranch_execz .LBB1_5
; %bb.4:
	v_mul_u32_u24_e32 v7, 24, v2
	v_lshlrev_b32_e32 v8, 3, v3
	s_delay_alu instid0(VALU_DEP_2) | instskip(NEXT) | instid1(VALU_DEP_1)
	v_add_co_u32 v3, s0, s10, v7
	v_add_co_ci_u32_e64 v4, null, s11, 0, s0
	s_delay_alu instid0(VALU_DEP_2) | instskip(NEXT) | instid1(VALU_DEP_1)
	v_add_co_u32 v3, s0, v3, v8
	v_add_co_ci_u32_e64 v4, s0, 0, v4, s0
	s_delay_alu instid0(VALU_DEP_1) | instskip(NEXT) | instid1(VALU_DEP_1)
	v_mad_u64_u32 v[5:6], null, 0x48, v1, v[3:4]
	v_mad_u64_u32 v[3:4], null, 0xd8, s12, v[5:6]
	v_mul_u32_u24_e32 v5, 0x48, v1
	s_delay_alu instid0(VALU_DEP_1)
	v_add3_u32 v5, v5, v7, v8
	global_load_b64 v[3:4], v[3:4], off
	s_waitcnt vmcnt(0)
	ds_store_b64 v5, v[3:4] offset:1024
.LBB1_5:
	s_or_b32 exec_lo, exec_lo, s1
	v_cmp_eq_u32_e64 s0, 0, v1
	s_waitcnt lgkmcnt(0)
	s_barrier
	buffer_gl0_inv
	s_and_saveexec_b32 s2, s0
	s_cbranch_execz .LBB1_9
; %bb.6:
	v_cmp_gt_u32_e64 s1, 3, v2
	s_delay_alu instid0(VALU_DEP_1)
	s_and_b32 exec_lo, exec_lo, s1
	s_cbranch_execz .LBB1_9
; %bb.7:
	v_and_b32_e32 v3, 0x3ff, v0
	s_delay_alu instid0(VALU_DEP_1) | instskip(NEXT) | instid1(VALU_DEP_1)
	v_cmp_gt_u32_e64 s1, 4, v3
	s_and_b32 exec_lo, exec_lo, s1
	s_cbranch_execz .LBB1_9
; %bb.8:
	v_lshlrev_b32_e32 v4, 5, v2
	v_lshlrev_b32_e32 v5, 3, v3
	s_delay_alu instid0(VALU_DEP_2) | instskip(NEXT) | instid1(VALU_DEP_1)
	v_add_co_u32 v4, s1, s4, v4
	v_add_co_ci_u32_e64 v6, null, s5, 0, s1
	s_delay_alu instid0(VALU_DEP_2) | instskip(NEXT) | instid1(VALU_DEP_1)
	v_add_co_u32 v4, s1, v4, v5
	v_add_co_ci_u32_e64 v5, s1, 0, v6, s1
	v_lshlrev_b32_e32 v6, 3, v2
	global_load_b64 v[4:5], v[4:5], off
	v_mad_u32_u24 v3, v3, 24, v6
	s_waitcnt vmcnt(0)
	ds_store_b64 v3, v[4:5] offset:3072
.LBB1_9:
	s_or_b32 exec_lo, exec_lo, s2
	s_waitcnt lgkmcnt(0)
	s_barrier
	buffer_gl0_inv
	s_and_saveexec_b32 s2, vcc_lo
	s_cbranch_execz .LBB1_13
; %bb.10:
	v_cmp_gt_u32_e64 s1, 3, v2
	s_delay_alu instid0(VALU_DEP_1)
	s_and_b32 exec_lo, exec_lo, s1
	s_cbranch_execz .LBB1_13
; %bb.11:
	v_and_b32_e32 v3, 0x3ff, v0
	s_delay_alu instid0(VALU_DEP_1) | instskip(NEXT) | instid1(VALU_DEP_1)
	v_cmp_gt_u32_e64 s1, 4, v3
	s_and_b32 exec_lo, exec_lo, s1
	s_cbranch_execz .LBB1_13
; %bb.12:
	v_mul_u32_u24_e32 v4, 24, v2
	v_mad_u32_u24 v5, v3, 24, 0xc00
	v_mul_u32_u24_e32 v14, 24, v3
	v_lshlrev_b32_e32 v3, 3, v3
	s_delay_alu instid0(VALU_DEP_4)
	v_mad_u32_u24 v12, 0x48, v1, v4
	ds_load_2addr_b64 v[4:7], v5 offset1:1
	ds_load_2addr_b64 v[8:11], v12 offset0:128 offset1:129
	ds_load_b64 v[12:13], v12 offset:1040
	ds_load_b64 v[14:15], v14 offset:3088
	s_waitcnt lgkmcnt(2)
	v_fma_f64 v[4:5], v[8:9], v[4:5], 0
	s_delay_alu instid0(VALU_DEP_1) | instskip(SKIP_2) | instid1(VALU_DEP_1)
	v_fma_f64 v[4:5], v[10:11], v[6:7], v[4:5]
	v_lshlrev_b32_e32 v6, 5, v2
	v_mul_u32_u24_e32 v7, 0x60, v1
	v_add3_u32 v3, v7, v6, v3
	s_waitcnt lgkmcnt(0)
	s_delay_alu instid0(VALU_DEP_4)
	v_fma_f64 v[4:5], v[12:13], v[14:15], v[4:5]
	ds_store_2addr_stride64_b64 v3, v[4:5], v[4:5] offset1:1
.LBB1_13:
	s_or_b32 exec_lo, exec_lo, s2
	s_waitcnt lgkmcnt(0)
	s_barrier
	buffer_gl0_inv
	s_and_saveexec_b32 s2, vcc_lo
	s_cbranch_execz .LBB1_17
; %bb.14:
	v_cmp_gt_u32_e64 s1, 4, v2
	s_delay_alu instid0(VALU_DEP_1)
	s_and_b32 exec_lo, exec_lo, s1
	s_cbranch_execz .LBB1_17
; %bb.15:
	v_and_b32_e32 v3, 0x3ff, v0
	s_delay_alu instid0(VALU_DEP_1) | instskip(NEXT) | instid1(VALU_DEP_1)
	v_cmp_gt_u32_e64 s1, 4, v3
	s_and_b32 exec_lo, exec_lo, s1
	s_cbranch_execz .LBB1_17
; %bb.16:
	v_lshlrev_b32_e32 v19, 3, v3
	v_mad_u32_u24 v7, v2, 24, 0xc00
	v_mul_u32_u24_e32 v15, 24, v2
	s_delay_alu instid0(VALU_DEP_3)
	v_mad_u32_u24 v20, 0x60, v1, v19
	ds_load_2addr_b64 v[3:6], v20 offset0:8 offset1:64
	ds_load_2addr_b64 v[7:10], v7 offset1:1
	ds_load_2addr_b64 v[11:14], v20 offset1:4
	ds_load_b64 v[15:16], v15 offset:3088
	s_waitcnt lgkmcnt(2)
	v_fma_f64 v[17:18], v[5:6], v[7:8], 0
	s_waitcnt lgkmcnt(1)
	v_fma_f64 v[11:12], v[7:8], v[11:12], 0
	ds_load_2addr_b64 v[5:8], v20 offset0:68 offset1:72
	s_waitcnt lgkmcnt(0)
	v_fma_f64 v[5:6], v[5:6], v[9:10], v[17:18]
	v_fma_f64 v[9:10], v[9:10], v[13:14], v[11:12]
	s_delay_alu instid0(VALU_DEP_2) | instskip(NEXT) | instid1(VALU_DEP_2)
	v_fma_f64 v[5:6], v[7:8], v[15:16], v[5:6]
	v_fma_f64 v[3:4], v[15:16], v[3:4], v[9:10]
	v_lshlrev_b32_e32 v7, 5, v2
	v_lshlrev_b32_e32 v8, 7, v1
	s_delay_alu instid0(VALU_DEP_1)
	v_add3_u32 v7, v8, v7, v19
	ds_store_2addr_stride64_b64 v7, v[5:6], v[3:4] offset0:3 offset1:4
	ds_store_b64 v7, v[3:4] offset:2560
.LBB1_17:
	s_or_b32 exec_lo, exec_lo, s2
	v_cmp_gt_u32_e64 s1, 4, v1
	s_waitcnt lgkmcnt(0)
	s_barrier
	buffer_gl0_inv
	s_and_saveexec_b32 s3, s1
	s_cbranch_execz .LBB1_21
; %bb.18:
	v_cmp_gt_u32_e64 s2, 4, v2
	s_delay_alu instid0(VALU_DEP_1)
	s_and_b32 exec_lo, exec_lo, s2
	s_cbranch_execz .LBB1_21
; %bb.19:
	v_and_b32_e32 v3, 0x3ff, v0
	s_delay_alu instid0(VALU_DEP_1) | instskip(NEXT) | instid1(VALU_DEP_1)
	v_cmp_gt_u32_e64 s2, 4, v3
	s_and_b32 exec_lo, exec_lo, s2
	s_cbranch_execz .LBB1_21
; %bb.20:
	v_lshlrev_b32_e32 v37, 5, v2
	v_lshlrev_b32_e32 v38, 3, v3
	;; [unrolled: 1-line block ×3, first 2 shown]
	v_mad_u32_u24 v7, v1, 24, 0xc00
	s_delay_alu instid0(VALU_DEP_4) | instskip(NEXT) | instid1(VALU_DEP_1)
	v_add_co_u32 v3, s2, s6, v37
	v_add_co_ci_u32_e64 v4, null, s7, 0, s2
	v_add_nc_u32_e32 v11, v37, v38
	s_delay_alu instid0(VALU_DEP_3) | instskip(NEXT) | instid1(VALU_DEP_1)
	v_add_co_u32 v3, s2, v3, v38
	v_add_co_ci_u32_e64 v4, s2, 0, v4, s2
	s_delay_alu instid0(VALU_DEP_3) | instskip(NEXT) | instid1(VALU_DEP_3)
	v_add_nc_u32_e32 v19, 0x800, v11
	v_add_co_u32 v3, s2, v3, v39
	s_delay_alu instid0(VALU_DEP_1) | instskip(NEXT) | instid1(VALU_DEP_1)
	v_add_co_ci_u32_e64 v4, s2, 0, v4, s2
	v_mad_u64_u32 v[5:6], null, 0xc00, s12, v[3:4]
	v_add_nc_u32_e32 v3, 0x400, v11
	s_clause 0x5
	global_load_b64 v[23:24], v[5:6], off offset:512
	global_load_b64 v[25:26], v[5:6], off offset:1536
	;; [unrolled: 1-line block ×3, first 2 shown]
	global_load_b64 v[29:30], v[5:6], off
	global_load_b64 v[31:32], v[5:6], off offset:1024
	global_load_b64 v[33:34], v[5:6], off offset:2560
	ds_load_2addr_b64 v[3:6], v3 offset0:96 offset1:128
	ds_load_2addr_b64 v[7:10], v7 offset1:1
	ds_load_b64 v[35:36], v11 offset:2816
	ds_load_2addr_b64 v[11:14], v11 offset0:192 offset1:208
	ds_load_2addr_b64 v[15:18], v19 offset0:16 offset1:32
	s_waitcnt lgkmcnt(3)
	v_fma_f64 v[5:6], v[7:8], v[5:6], 0
	s_waitcnt lgkmcnt(1)
	v_fma_f64 v[11:12], v[11:12], v[7:8], 0
	s_waitcnt lgkmcnt(0)
	s_delay_alu instid0(VALU_DEP_2) | instskip(SKIP_1) | instid1(VALU_DEP_3)
	v_fma_f64 v[5:6], v[9:10], v[15:16], v[5:6]
	v_mul_u32_u24_e32 v15, 24, v1
	v_fma_f64 v[11:12], v[13:14], v[9:10], v[11:12]
	ds_load_2addr_b64 v[19:22], v19 offset0:64 offset1:80
	ds_load_b64 v[15:16], v15 offset:3088
	s_waitcnt lgkmcnt(1)
	v_fma_f64 v[7:8], v[7:8], v[19:20], 0
	s_waitcnt lgkmcnt(0)
	v_fma_f64 v[5:6], v[15:16], v[17:18], v[5:6]
	v_fma_f64 v[3:4], v[3:4], v[15:16], v[11:12]
	s_delay_alu instid0(VALU_DEP_3) | instskip(NEXT) | instid1(VALU_DEP_1)
	v_fma_f64 v[7:8], v[9:10], v[21:22], v[7:8]
	v_fma_f64 v[7:8], v[15:16], v[35:36], v[7:8]
	s_waitcnt vmcnt(5)
	s_delay_alu instid0(VALU_DEP_4)
	v_mul_f64 v[9:10], v[5:6], v[23:24]
	s_waitcnt vmcnt(4)
	v_mul_f64 v[11:12], v[5:6], v[25:26]
	s_waitcnt vmcnt(3)
	;; [unrolled: 2-line block ×3, first 2 shown]
	s_delay_alu instid0(VALU_DEP_3) | instskip(NEXT) | instid1(VALU_DEP_3)
	v_fma_f64 v[9:10], v[3:4], v[29:30], v[9:10]
	v_fma_f64 v[11:12], v[3:4], v[23:24], v[11:12]
	s_waitcnt vmcnt(1)
	s_delay_alu instid0(VALU_DEP_3) | instskip(NEXT) | instid1(VALU_DEP_3)
	v_fma_f64 v[3:4], v[3:4], v[31:32], v[5:6]
	v_fma_f64 v[5:6], v[7:8], v[31:32], v[9:10]
	s_delay_alu instid0(VALU_DEP_3) | instskip(SKIP_1) | instid1(VALU_DEP_3)
	v_fma_f64 v[9:10], v[7:8], v[27:28], v[11:12]
	s_waitcnt vmcnt(0)
	v_fma_f64 v[3:4], v[7:8], v[33:34], v[3:4]
	v_add3_u32 v7, v39, v37, v38
	ds_store_2addr_stride64_b64 v7, v[5:6], v[9:10] offset1:1
	ds_store_b64 v7, v[3:4] offset:1024
.LBB1_21:
	s_or_b32 exec_lo, exec_lo, s3
	s_waitcnt lgkmcnt(0)
	s_barrier
	buffer_gl0_inv
	s_and_saveexec_b32 s2, s0
	s_cbranch_execz .LBB1_25
; %bb.22:
	v_cmp_gt_u32_e64 s0, 3, v2
	s_delay_alu instid0(VALU_DEP_1)
	s_and_b32 exec_lo, exec_lo, s0
	s_cbranch_execz .LBB1_25
; %bb.23:
	v_and_b32_e32 v3, 0x3ff, v0
	s_delay_alu instid0(VALU_DEP_1) | instskip(NEXT) | instid1(VALU_DEP_1)
	v_cmp_gt_u32_e64 s0, 4, v3
	s_and_b32 exec_lo, exec_lo, s0
	s_cbranch_execz .LBB1_25
; %bb.24:
	v_lshlrev_b32_e32 v5, 5, v2
	v_lshlrev_b32_e32 v6, 3, v3
	s_delay_alu instid0(VALU_DEP_2) | instskip(NEXT) | instid1(VALU_DEP_1)
	v_add_co_u32 v3, s0, s4, v5
	v_add_co_ci_u32_e64 v4, null, s5, 0, s0
	s_delay_alu instid0(VALU_DEP_3) | instskip(NEXT) | instid1(VALU_DEP_3)
	v_add_nc_u32_e32 v5, v5, v6
	v_add_co_u32 v3, s0, v3, v6
	s_delay_alu instid0(VALU_DEP_1)
	v_add_co_ci_u32_e64 v4, s0, 0, v4, s0
	global_load_b64 v[3:4], v[3:4], off
	s_waitcnt vmcnt(0)
	ds_store_b64 v5, v[3:4] offset:3072
.LBB1_25:
	s_or_b32 exec_lo, exec_lo, s2
	s_waitcnt lgkmcnt(0)
	s_barrier
	buffer_gl0_inv
	s_and_saveexec_b32 s2, s1
	s_cbranch_execz .LBB1_29
; %bb.26:
	v_cmp_gt_u32_e64 s0, 4, v2
	s_delay_alu instid0(VALU_DEP_1)
	s_and_b32 exec_lo, exec_lo, s0
	s_cbranch_execz .LBB1_29
; %bb.27:
	v_and_b32_e32 v3, 0x3ff, v0
	s_delay_alu instid0(VALU_DEP_1) | instskip(NEXT) | instid1(VALU_DEP_1)
	v_cmp_gt_u32_e64 s0, 3, v3
	s_and_b32 exec_lo, exec_lo, s0
	s_cbranch_execz .LBB1_29
; %bb.28:
	v_lshlrev_b32_e32 v4, 5, v2
	v_lshlrev_b32_e32 v20, 5, v3
	;; [unrolled: 1-line block ×3, first 2 shown]
	s_delay_alu instid0(VALU_DEP_3)
	v_lshl_add_u32 v32, v1, 7, v4
	ds_load_b128 v[4:7], v32
	ds_load_b128 v[8:11], v20 offset:3072
	ds_load_b128 v[12:15], v32 offset:512
	;; [unrolled: 1-line block ×7, first 2 shown]
	s_waitcnt lgkmcnt(6)
	v_fma_f64 v[4:5], v[4:5], v[8:9], 0
	s_waitcnt lgkmcnt(5)
	v_fma_f64 v[12:13], v[8:9], v[12:13], 0
	;; [unrolled: 2-line block ×3, first 2 shown]
	s_delay_alu instid0(VALU_DEP_3) | instskip(NEXT) | instid1(VALU_DEP_3)
	v_fma_f64 v[4:5], v[6:7], v[10:11], v[4:5]
	v_fma_f64 v[6:7], v[10:11], v[14:15], v[12:13]
	s_delay_alu instid0(VALU_DEP_3) | instskip(SKIP_2) | instid1(VALU_DEP_1)
	v_fma_f64 v[8:9], v[10:11], v[18:19], v[8:9]
	v_mul_u32_u24_e32 v10, 24, v2
	v_mul_u32_u24_e32 v11, 0x60, v1
	v_add3_u32 v3, v11, v10, v3
	s_waitcnt lgkmcnt(2)
	v_fma_f64 v[4:5], v[24:25], v[20:21], v[4:5]
	s_waitcnt lgkmcnt(1)
	v_fma_f64 v[6:7], v[20:21], v[28:29], v[6:7]
	;; [unrolled: 2-line block ×3, first 2 shown]
	s_delay_alu instid0(VALU_DEP_3) | instskip(NEXT) | instid1(VALU_DEP_3)
	v_fma_f64 v[4:5], v[26:27], v[22:23], v[4:5]
	v_fma_f64 v[6:7], v[22:23], v[30:31], v[6:7]
	s_delay_alu instid0(VALU_DEP_3)
	v_fma_f64 v[8:9], v[22:23], v[34:35], v[8:9]
	ds_store_2addr_stride64_b64 v3, v[4:5], v[6:7] offset0:3 offset1:4
	ds_store_b64 v3, v[8:9] offset:2560
.LBB1_29:
	s_or_b32 exec_lo, exec_lo, s2
	s_waitcnt lgkmcnt(0)
	s_barrier
	buffer_gl0_inv
	s_and_saveexec_b32 s2, s1
	s_cbranch_execz .LBB1_33
; %bb.30:
	v_cmp_gt_u32_e64 s0, 3, v2
	s_delay_alu instid0(VALU_DEP_1)
	s_and_b32 exec_lo, exec_lo, s0
	s_cbranch_execz .LBB1_33
; %bb.31:
	v_and_b32_e32 v3, 0x3ff, v0
	s_delay_alu instid0(VALU_DEP_1) | instskip(NEXT) | instid1(VALU_DEP_1)
	v_cmp_gt_u32_e64 s0, 3, v3
	s_and_b32 exec_lo, exec_lo, s0
	s_cbranch_execz .LBB1_33
; %bb.32:
	v_lshlrev_b32_e32 v25, 3, v3
	v_lshlrev_b32_e32 v19, 5, v2
	s_delay_alu instid0(VALU_DEP_2) | instskip(NEXT) | instid1(VALU_DEP_1)
	v_mad_u32_u24 v26, 0x60, v1, v25
	v_add_nc_u32_e32 v27, 0x800, v26
	ds_load_2addr_b64 v[3:6], v26 offset0:192 offset1:195
	ds_load_b128 v[7:10], v19 offset:3072
	ds_load_2addr_b64 v[11:14], v27 offset1:3
	ds_load_2addr_b64 v[15:18], v27 offset0:64 offset1:67
	ds_load_b128 v[19:22], v19 offset:3088
	s_waitcnt lgkmcnt(3)
	v_fma_f64 v[3:4], v[3:4], v[7:8], 0
	s_waitcnt lgkmcnt(2)
	v_fma_f64 v[11:12], v[7:8], v[11:12], 0
	;; [unrolled: 2-line block ×3, first 2 shown]
	s_delay_alu instid0(VALU_DEP_3) | instskip(NEXT) | instid1(VALU_DEP_3)
	v_fma_f64 v[15:16], v[5:6], v[9:10], v[3:4]
	v_fma_f64 v[23:24], v[9:10], v[13:14], v[11:12]
	s_delay_alu instid0(VALU_DEP_3)
	v_fma_f64 v[17:18], v[9:10], v[17:18], v[7:8]
	ds_load_2addr_b64 v[3:6], v26 offset0:198 offset1:201
	ds_load_2addr_b64 v[7:10], v27 offset0:6 offset1:9
	;; [unrolled: 1-line block ×3, first 2 shown]
	s_waitcnt lgkmcnt(2)
	v_fma_f64 v[3:4], v[3:4], v[19:20], v[15:16]
	s_waitcnt lgkmcnt(1)
	v_fma_f64 v[7:8], v[19:20], v[7:8], v[23:24]
	;; [unrolled: 2-line block ×3, first 2 shown]
	s_delay_alu instid0(VALU_DEP_3) | instskip(NEXT) | instid1(VALU_DEP_3)
	v_fma_f64 v[3:4], v[5:6], v[21:22], v[3:4]
	v_fma_f64 v[5:6], v[21:22], v[9:10], v[7:8]
	s_delay_alu instid0(VALU_DEP_3) | instskip(SKIP_2) | instid1(VALU_DEP_1)
	v_fma_f64 v[7:8], v[21:22], v[13:14], v[11:12]
	v_mul_u32_u24_e32 v9, 24, v2
	v_mul_u32_u24_e32 v10, 0x48, v1
	v_add3_u32 v9, v10, v9, v25
	ds_store_2addr_stride64_b64 v9, v[3:4], v[5:6] offset1:1
	ds_store_b64 v9, v[7:8] offset:1024
.LBB1_33:
	s_or_b32 exec_lo, exec_lo, s2
	s_waitcnt lgkmcnt(0)
	s_barrier
	buffer_gl0_inv
	s_and_saveexec_b32 s0, vcc_lo
	s_cbranch_execz .LBB1_37
; %bb.34:
	v_cmp_gt_u32_e32 vcc_lo, 3, v2
	s_and_b32 exec_lo, exec_lo, vcc_lo
	s_cbranch_execz .LBB1_37
; %bb.35:
	v_and_b32_e32 v0, 0x3ff, v0
	s_delay_alu instid0(VALU_DEP_1)
	v_cmp_gt_u32_e32 vcc_lo, 3, v0
	s_and_b32 exec_lo, exec_lo, vcc_lo
	s_cbranch_execz .LBB1_37
; %bb.36:
	v_mul_u32_u24_e32 v3, 24, v2
	v_lshlrev_b32_e32 v0, 3, v0
	v_lshlrev_b32_e32 v12, 5, v1
	s_delay_alu instid0(VALU_DEP_3) | instskip(NEXT) | instid1(VALU_DEP_1)
	v_add_co_u32 v3, s0, s8, v3
	v_add_co_ci_u32_e64 v4, null, s9, 0, s0
	s_delay_alu instid0(VALU_DEP_4) | instskip(NEXT) | instid1(VALU_DEP_3)
	v_mad_u32_u24 v26, v2, 24, v0
	v_add_co_u32 v3, vcc_lo, v3, v0
	s_delay_alu instid0(VALU_DEP_3) | instskip(NEXT) | instid1(VALU_DEP_1)
	v_add_co_ci_u32_e32 v4, vcc_lo, 0, v4, vcc_lo
	v_mad_u64_u32 v[5:6], null, 0x48, v1, v[3:4]
	s_delay_alu instid0(VALU_DEP_1)
	v_mad_u64_u32 v[20:21], null, 0xd8, s12, v[5:6]
	global_load_b64 v[22:23], v[20:21], off
	ds_load_2addr_b64 v[0:3], v26 offset1:9
	ds_load_b128 v[4:7], v12 offset:3072
	ds_load_2addr_b64 v[8:11], v26 offset0:64 offset1:73
	ds_load_b128 v[12:15], v12 offset:3088
	ds_load_2addr_b64 v[16:19], v26 offset0:128 offset1:137
	s_waitcnt lgkmcnt(3)
	v_fma_f64 v[0:1], v[0:1], v[4:5], 0
	s_waitcnt lgkmcnt(2)
	v_fma_f64 v[8:9], v[4:5], v[8:9], 0
	;; [unrolled: 2-line block ×3, first 2 shown]
	s_delay_alu instid0(VALU_DEP_3) | instskip(NEXT) | instid1(VALU_DEP_3)
	v_fma_f64 v[16:17], v[2:3], v[6:7], v[0:1]
	v_fma_f64 v[24:25], v[6:7], v[10:11], v[8:9]
	ds_load_2addr_b64 v[0:3], v26 offset0:18 offset1:27
	ds_load_2addr_b64 v[8:11], v26 offset0:82 offset1:91
	v_fma_f64 v[18:19], v[6:7], v[18:19], v[4:5]
	ds_load_2addr_b64 v[4:7], v26 offset0:146 offset1:155
	s_waitcnt lgkmcnt(2)
	v_fma_f64 v[0:1], v[0:1], v[12:13], v[16:17]
	s_waitcnt lgkmcnt(1)
	v_fma_f64 v[8:9], v[12:13], v[8:9], v[24:25]
	;; [unrolled: 2-line block ×3, first 2 shown]
	s_delay_alu instid0(VALU_DEP_3) | instskip(NEXT) | instid1(VALU_DEP_3)
	v_fma_f64 v[0:1], v[2:3], v[14:15], v[0:1]
	v_fma_f64 v[2:3], v[14:15], v[10:11], v[8:9]
	s_delay_alu instid0(VALU_DEP_3) | instskip(NEXT) | instid1(VALU_DEP_2)
	v_fma_f64 v[4:5], v[14:15], v[6:7], v[4:5]
	v_add_f64 v[0:1], v[0:1], v[2:3]
	s_delay_alu instid0(VALU_DEP_1) | instskip(SKIP_1) | instid1(VALU_DEP_1)
	v_add_f64 v[0:1], v[0:1], v[4:5]
	s_waitcnt vmcnt(0)
	v_add_f64 v[0:1], v[22:23], v[0:1]
	global_store_b64 v[20:21], v[0:1], off
.LBB1_37:
	s_nop 0
	s_sendmsg sendmsg(MSG_DEALLOC_VGPRS)
	s_endpgm
	.section	.rodata,"a",@progbits
	.p2align	6, 0x0
	.amdhsa_kernel _ZN4RAJA34launch_new_reduce_global_fcn_fixedIZN8rajaperf4apps13DIFFUSION3DPA17runHipVariantImplILm64EEEvNS1_9VariantIDEEUlNS_14LaunchContextTINS_3hip33LaunchContextIndicesAndDimsPolicyINS7_14IndicesAndDimsILb0ELb0ELb0ELb0EEEEEEEE_Li64ENS_4expt15ForallParamPackIJEEEEEvT_T1_
		.amdhsa_group_segment_fixed_size 3168
		.amdhsa_private_segment_fixed_size 0
		.amdhsa_kernarg_size 52
		.amdhsa_user_sgpr_count 15
		.amdhsa_user_sgpr_dispatch_ptr 0
		.amdhsa_user_sgpr_queue_ptr 0
		.amdhsa_user_sgpr_kernarg_segment_ptr 1
		.amdhsa_user_sgpr_dispatch_id 0
		.amdhsa_user_sgpr_private_segment_size 0
		.amdhsa_wavefront_size32 1
		.amdhsa_uses_dynamic_stack 0
		.amdhsa_enable_private_segment 0
		.amdhsa_system_sgpr_workgroup_id_x 1
		.amdhsa_system_sgpr_workgroup_id_y 0
		.amdhsa_system_sgpr_workgroup_id_z 0
		.amdhsa_system_sgpr_workgroup_info 0
		.amdhsa_system_vgpr_workitem_id 2
		.amdhsa_next_free_vgpr 40
		.amdhsa_next_free_sgpr 16
		.amdhsa_reserve_vcc 1
		.amdhsa_float_round_mode_32 0
		.amdhsa_float_round_mode_16_64 0
		.amdhsa_float_denorm_mode_32 3
		.amdhsa_float_denorm_mode_16_64 3
		.amdhsa_dx10_clamp 1
		.amdhsa_ieee_mode 1
		.amdhsa_fp16_overflow 0
		.amdhsa_workgroup_processor_mode 1
		.amdhsa_memory_ordered 1
		.amdhsa_forward_progress 0
		.amdhsa_shared_vgpr_count 0
		.amdhsa_exception_fp_ieee_invalid_op 0
		.amdhsa_exception_fp_denorm_src 0
		.amdhsa_exception_fp_ieee_div_zero 0
		.amdhsa_exception_fp_ieee_overflow 0
		.amdhsa_exception_fp_ieee_underflow 0
		.amdhsa_exception_fp_ieee_inexact 0
		.amdhsa_exception_int_div_zero 0
	.end_amdhsa_kernel
	.section	.text._ZN4RAJA34launch_new_reduce_global_fcn_fixedIZN8rajaperf4apps13DIFFUSION3DPA17runHipVariantImplILm64EEEvNS1_9VariantIDEEUlNS_14LaunchContextTINS_3hip33LaunchContextIndicesAndDimsPolicyINS7_14IndicesAndDimsILb0ELb0ELb0ELb0EEEEEEEE_Li64ENS_4expt15ForallParamPackIJEEEEEvT_T1_,"axG",@progbits,_ZN4RAJA34launch_new_reduce_global_fcn_fixedIZN8rajaperf4apps13DIFFUSION3DPA17runHipVariantImplILm64EEEvNS1_9VariantIDEEUlNS_14LaunchContextTINS_3hip33LaunchContextIndicesAndDimsPolicyINS7_14IndicesAndDimsILb0ELb0ELb0ELb0EEEEEEEE_Li64ENS_4expt15ForallParamPackIJEEEEEvT_T1_,comdat
.Lfunc_end1:
	.size	_ZN4RAJA34launch_new_reduce_global_fcn_fixedIZN8rajaperf4apps13DIFFUSION3DPA17runHipVariantImplILm64EEEvNS1_9VariantIDEEUlNS_14LaunchContextTINS_3hip33LaunchContextIndicesAndDimsPolicyINS7_14IndicesAndDimsILb0ELb0ELb0ELb0EEEEEEEE_Li64ENS_4expt15ForallParamPackIJEEEEEvT_T1_, .Lfunc_end1-_ZN4RAJA34launch_new_reduce_global_fcn_fixedIZN8rajaperf4apps13DIFFUSION3DPA17runHipVariantImplILm64EEEvNS1_9VariantIDEEUlNS_14LaunchContextTINS_3hip33LaunchContextIndicesAndDimsPolicyINS7_14IndicesAndDimsILb0ELb0ELb0ELb0EEEEEEEE_Li64ENS_4expt15ForallParamPackIJEEEEEvT_T1_
                                        ; -- End function
	.section	.AMDGPU.csdata,"",@progbits
; Kernel info:
; codeLenInByte = 2680
; NumSgprs: 18
; NumVgprs: 40
; ScratchSize: 0
; MemoryBound: 0
; FloatMode: 240
; IeeeMode: 1
; LDSByteSize: 3168 bytes/workgroup (compile time only)
; SGPRBlocks: 2
; VGPRBlocks: 4
; NumSGPRsForWavesPerEU: 18
; NumVGPRsForWavesPerEU: 40
; Occupancy: 16
; WaveLimiterHint : 1
; COMPUTE_PGM_RSRC2:SCRATCH_EN: 0
; COMPUTE_PGM_RSRC2:USER_SGPR: 15
; COMPUTE_PGM_RSRC2:TRAP_HANDLER: 0
; COMPUTE_PGM_RSRC2:TGID_X_EN: 1
; COMPUTE_PGM_RSRC2:TGID_Y_EN: 0
; COMPUTE_PGM_RSRC2:TGID_Z_EN: 0
; COMPUTE_PGM_RSRC2:TIDIG_COMP_CNT: 2
	.text
	.p2alignl 7, 3214868480
	.fill 96, 4, 3214868480
	.type	__hip_cuid_f62a83c30dc11828,@object ; @__hip_cuid_f62a83c30dc11828
	.section	.bss,"aw",@nobits
	.globl	__hip_cuid_f62a83c30dc11828
__hip_cuid_f62a83c30dc11828:
	.byte	0                               ; 0x0
	.size	__hip_cuid_f62a83c30dc11828, 1

	.ident	"AMD clang version 19.0.0git (https://github.com/RadeonOpenCompute/llvm-project roc-6.4.0 25133 c7fe45cf4b819c5991fe208aaa96edf142730f1d)"
	.section	".note.GNU-stack","",@progbits
	.addrsig
	.addrsig_sym __hip_cuid_f62a83c30dc11828
	.amdgpu_metadata
---
amdhsa.kernels:
  - .args:
      - .address_space:  global
        .offset:         0
        .size:           8
        .value_kind:     global_buffer
      - .address_space:  global
        .offset:         8
        .size:           8
        .value_kind:     global_buffer
      - .address_space:  global
        .offset:         16
        .size:           8
        .value_kind:     global_buffer
      - .address_space:  global
        .offset:         24
        .size:           8
        .value_kind:     global_buffer
      - .address_space:  global
        .offset:         32
        .size:           8
        .value_kind:     global_buffer
      - .offset:         40
        .size:           1
        .value_kind:     by_value
    .group_segment_fixed_size: 3168
    .kernarg_segment_align: 8
    .kernarg_segment_size: 44
    .language:       OpenCL C
    .language_version:
      - 2
      - 0
    .max_flat_workgroup_size: 64
    .name:           _ZN8rajaperf4apps13Diffusion3DPAILm64EEEvPdS2_S2_S2_S2_b
    .private_segment_fixed_size: 0
    .sgpr_count:     26
    .sgpr_spill_count: 0
    .symbol:         _ZN8rajaperf4apps13Diffusion3DPAILm64EEEvPdS2_S2_S2_S2_b.kd
    .uniform_work_group_size: 1
    .uses_dynamic_stack: false
    .vgpr_count:     48
    .vgpr_spill_count: 0
    .wavefront_size: 32
    .workgroup_processor_mode: 1
  - .args:
      - .offset:         0
        .size:           48
        .value_kind:     by_value
      - .offset:         48
        .size:           1
        .value_kind:     by_value
    .group_segment_fixed_size: 3168
    .kernarg_segment_align: 8
    .kernarg_segment_size: 52
    .language:       OpenCL C
    .language_version:
      - 2
      - 0
    .max_flat_workgroup_size: 64
    .name:           _ZN4RAJA34launch_new_reduce_global_fcn_fixedIZN8rajaperf4apps13DIFFUSION3DPA17runHipVariantImplILm64EEEvNS1_9VariantIDEEUlNS_14LaunchContextTINS_3hip33LaunchContextIndicesAndDimsPolicyINS7_14IndicesAndDimsILb0ELb0ELb0ELb0EEEEEEEE_Li64ENS_4expt15ForallParamPackIJEEEEEvT_T1_
    .private_segment_fixed_size: 0
    .sgpr_count:     18
    .sgpr_spill_count: 0
    .symbol:         _ZN4RAJA34launch_new_reduce_global_fcn_fixedIZN8rajaperf4apps13DIFFUSION3DPA17runHipVariantImplILm64EEEvNS1_9VariantIDEEUlNS_14LaunchContextTINS_3hip33LaunchContextIndicesAndDimsPolicyINS7_14IndicesAndDimsILb0ELb0ELb0ELb0EEEEEEEE_Li64ENS_4expt15ForallParamPackIJEEEEEvT_T1_.kd
    .uniform_work_group_size: 1
    .uses_dynamic_stack: false
    .vgpr_count:     40
    .vgpr_spill_count: 0
    .wavefront_size: 32
    .workgroup_processor_mode: 1
amdhsa.target:   amdgcn-amd-amdhsa--gfx1100
amdhsa.version:
  - 1
  - 2
...

	.end_amdgpu_metadata
